;; amdgpu-corpus repo=ROCm/rocFFT kind=compiled arch=gfx1030 opt=O3
	.text
	.amdgcn_target "amdgcn-amd-amdhsa--gfx1030"
	.amdhsa_code_object_version 6
	.protected	fft_rtc_fwd_len320_factors_10_4_4_2_wgs_64_tpt_16_halfLds_dp_op_CI_CI_unitstride_sbrr_C2R_dirReg ; -- Begin function fft_rtc_fwd_len320_factors_10_4_4_2_wgs_64_tpt_16_halfLds_dp_op_CI_CI_unitstride_sbrr_C2R_dirReg
	.globl	fft_rtc_fwd_len320_factors_10_4_4_2_wgs_64_tpt_16_halfLds_dp_op_CI_CI_unitstride_sbrr_C2R_dirReg
	.p2align	8
	.type	fft_rtc_fwd_len320_factors_10_4_4_2_wgs_64_tpt_16_halfLds_dp_op_CI_CI_unitstride_sbrr_C2R_dirReg,@function
fft_rtc_fwd_len320_factors_10_4_4_2_wgs_64_tpt_16_halfLds_dp_op_CI_CI_unitstride_sbrr_C2R_dirReg: ; @fft_rtc_fwd_len320_factors_10_4_4_2_wgs_64_tpt_16_halfLds_dp_op_CI_CI_unitstride_sbrr_C2R_dirReg
; %bb.0:
	s_clause 0x2
	s_load_dwordx4 s[12:15], s[4:5], 0x0
	s_load_dwordx4 s[8:11], s[4:5], 0x58
	;; [unrolled: 1-line block ×3, first 2 shown]
	v_lshrrev_b32_e32 v7, 4, v0
	v_mov_b32_e32 v3, 0
	v_mov_b32_e32 v1, 0
	;; [unrolled: 1-line block ×3, first 2 shown]
	v_lshl_or_b32 v5, s6, 2, v7
	v_mov_b32_e32 v6, v3
	s_waitcnt lgkmcnt(0)
	v_cmp_lt_u64_e64 s0, s[14:15], 2
	s_and_b32 vcc_lo, exec_lo, s0
	s_cbranch_vccnz .LBB0_8
; %bb.1:
	s_load_dwordx2 s[0:1], s[4:5], 0x10
	v_mov_b32_e32 v1, 0
	v_mov_b32_e32 v2, 0
	s_add_u32 s2, s18, 8
	s_addc_u32 s3, s19, 0
	s_add_u32 s6, s16, 8
	s_addc_u32 s7, s17, 0
	v_mov_b32_e32 v61, v2
	v_mov_b32_e32 v60, v1
	s_mov_b64 s[22:23], 1
	s_waitcnt lgkmcnt(0)
	s_add_u32 s20, s0, 8
	s_addc_u32 s21, s1, 0
.LBB0_2:                                ; =>This Inner Loop Header: Depth=1
	s_load_dwordx2 s[24:25], s[20:21], 0x0
                                        ; implicit-def: $vgpr64_vgpr65
	s_mov_b32 s0, exec_lo
	s_waitcnt lgkmcnt(0)
	v_or_b32_e32 v4, s25, v6
	v_cmpx_ne_u64_e32 0, v[3:4]
	s_xor_b32 s1, exec_lo, s0
	s_cbranch_execz .LBB0_4
; %bb.3:                                ;   in Loop: Header=BB0_2 Depth=1
	v_cvt_f32_u32_e32 v4, s24
	v_cvt_f32_u32_e32 v8, s25
	s_sub_u32 s0, 0, s24
	s_subb_u32 s26, 0, s25
	v_fmac_f32_e32 v4, 0x4f800000, v8
	v_rcp_f32_e32 v4, v4
	v_mul_f32_e32 v4, 0x5f7ffffc, v4
	v_mul_f32_e32 v8, 0x2f800000, v4
	v_trunc_f32_e32 v8, v8
	v_fmac_f32_e32 v4, 0xcf800000, v8
	v_cvt_u32_f32_e32 v8, v8
	v_cvt_u32_f32_e32 v4, v4
	v_mul_lo_u32 v9, s0, v8
	v_mul_hi_u32 v10, s0, v4
	v_mul_lo_u32 v11, s26, v4
	v_add_nc_u32_e32 v9, v10, v9
	v_mul_lo_u32 v10, s0, v4
	v_add_nc_u32_e32 v9, v9, v11
	v_mul_hi_u32 v11, v4, v10
	v_mul_lo_u32 v12, v4, v9
	v_mul_hi_u32 v13, v4, v9
	v_mul_hi_u32 v14, v8, v10
	v_mul_lo_u32 v10, v8, v10
	v_mul_hi_u32 v15, v8, v9
	v_mul_lo_u32 v9, v8, v9
	v_add_co_u32 v11, vcc_lo, v11, v12
	v_add_co_ci_u32_e32 v12, vcc_lo, 0, v13, vcc_lo
	v_add_co_u32 v10, vcc_lo, v11, v10
	v_add_co_ci_u32_e32 v10, vcc_lo, v12, v14, vcc_lo
	v_add_co_ci_u32_e32 v11, vcc_lo, 0, v15, vcc_lo
	v_add_co_u32 v9, vcc_lo, v10, v9
	v_add_co_ci_u32_e32 v10, vcc_lo, 0, v11, vcc_lo
	v_add_co_u32 v4, vcc_lo, v4, v9
	v_add_co_ci_u32_e32 v8, vcc_lo, v8, v10, vcc_lo
	v_mul_hi_u32 v9, s0, v4
	v_mul_lo_u32 v11, s26, v4
	v_mul_lo_u32 v10, s0, v8
	v_add_nc_u32_e32 v9, v9, v10
	v_mul_lo_u32 v10, s0, v4
	v_add_nc_u32_e32 v9, v9, v11
	v_mul_hi_u32 v11, v4, v10
	v_mul_lo_u32 v12, v4, v9
	v_mul_hi_u32 v13, v4, v9
	v_mul_hi_u32 v14, v8, v10
	v_mul_lo_u32 v10, v8, v10
	v_mul_hi_u32 v15, v8, v9
	v_mul_lo_u32 v9, v8, v9
	v_add_co_u32 v11, vcc_lo, v11, v12
	v_add_co_ci_u32_e32 v12, vcc_lo, 0, v13, vcc_lo
	v_add_co_u32 v10, vcc_lo, v11, v10
	v_add_co_ci_u32_e32 v10, vcc_lo, v12, v14, vcc_lo
	v_add_co_ci_u32_e32 v11, vcc_lo, 0, v15, vcc_lo
	v_add_co_u32 v9, vcc_lo, v10, v9
	v_add_co_ci_u32_e32 v10, vcc_lo, 0, v11, vcc_lo
	v_add_co_u32 v4, vcc_lo, v4, v9
	v_add_co_ci_u32_e32 v12, vcc_lo, v8, v10, vcc_lo
	v_mul_hi_u32 v14, v5, v4
	v_mad_u64_u32 v[10:11], null, v6, v4, 0
	v_mad_u64_u32 v[8:9], null, v5, v12, 0
	;; [unrolled: 1-line block ×3, first 2 shown]
	v_add_co_u32 v4, vcc_lo, v14, v8
	v_add_co_ci_u32_e32 v8, vcc_lo, 0, v9, vcc_lo
	v_add_co_u32 v4, vcc_lo, v4, v10
	v_add_co_ci_u32_e32 v4, vcc_lo, v8, v11, vcc_lo
	v_add_co_ci_u32_e32 v8, vcc_lo, 0, v13, vcc_lo
	v_add_co_u32 v4, vcc_lo, v4, v12
	v_add_co_ci_u32_e32 v10, vcc_lo, 0, v8, vcc_lo
	v_mul_lo_u32 v11, s25, v4
	v_mad_u64_u32 v[8:9], null, s24, v4, 0
	v_mul_lo_u32 v12, s24, v10
	v_sub_co_u32 v8, vcc_lo, v5, v8
	v_add3_u32 v9, v9, v12, v11
	v_sub_nc_u32_e32 v11, v6, v9
	v_subrev_co_ci_u32_e64 v11, s0, s25, v11, vcc_lo
	v_add_co_u32 v12, s0, v4, 2
	v_add_co_ci_u32_e64 v13, s0, 0, v10, s0
	v_sub_co_u32 v14, s0, v8, s24
	v_sub_co_ci_u32_e32 v9, vcc_lo, v6, v9, vcc_lo
	v_subrev_co_ci_u32_e64 v11, s0, 0, v11, s0
	v_cmp_le_u32_e32 vcc_lo, s24, v14
	v_cmp_eq_u32_e64 s0, s25, v9
	v_cndmask_b32_e64 v14, 0, -1, vcc_lo
	v_cmp_le_u32_e32 vcc_lo, s25, v11
	v_cndmask_b32_e64 v15, 0, -1, vcc_lo
	v_cmp_le_u32_e32 vcc_lo, s24, v8
	;; [unrolled: 2-line block ×3, first 2 shown]
	v_cndmask_b32_e64 v16, 0, -1, vcc_lo
	v_cmp_eq_u32_e32 vcc_lo, s25, v11
	v_cndmask_b32_e64 v8, v16, v8, s0
	v_cndmask_b32_e32 v11, v15, v14, vcc_lo
	v_add_co_u32 v14, vcc_lo, v4, 1
	v_add_co_ci_u32_e32 v15, vcc_lo, 0, v10, vcc_lo
	v_cmp_ne_u32_e32 vcc_lo, 0, v11
	v_cndmask_b32_e32 v9, v15, v13, vcc_lo
	v_cndmask_b32_e32 v11, v14, v12, vcc_lo
	v_cmp_ne_u32_e32 vcc_lo, 0, v8
	v_cndmask_b32_e32 v65, v10, v9, vcc_lo
	v_cndmask_b32_e32 v64, v4, v11, vcc_lo
.LBB0_4:                                ;   in Loop: Header=BB0_2 Depth=1
	s_andn2_saveexec_b32 s0, s1
	s_cbranch_execz .LBB0_6
; %bb.5:                                ;   in Loop: Header=BB0_2 Depth=1
	v_cvt_f32_u32_e32 v4, s24
	s_sub_i32 s1, 0, s24
	v_mov_b32_e32 v65, v3
	v_rcp_iflag_f32_e32 v4, v4
	v_mul_f32_e32 v4, 0x4f7ffffe, v4
	v_cvt_u32_f32_e32 v4, v4
	v_mul_lo_u32 v8, s1, v4
	v_mul_hi_u32 v8, v4, v8
	v_add_nc_u32_e32 v4, v4, v8
	v_mul_hi_u32 v4, v5, v4
	v_mul_lo_u32 v8, v4, s24
	v_add_nc_u32_e32 v9, 1, v4
	v_sub_nc_u32_e32 v8, v5, v8
	v_subrev_nc_u32_e32 v10, s24, v8
	v_cmp_le_u32_e32 vcc_lo, s24, v8
	v_cndmask_b32_e32 v8, v8, v10, vcc_lo
	v_cndmask_b32_e32 v4, v4, v9, vcc_lo
	v_cmp_le_u32_e32 vcc_lo, s24, v8
	v_add_nc_u32_e32 v9, 1, v4
	v_cndmask_b32_e32 v64, v4, v9, vcc_lo
.LBB0_6:                                ;   in Loop: Header=BB0_2 Depth=1
	s_or_b32 exec_lo, exec_lo, s0
	v_mul_lo_u32 v4, v65, s24
	v_mul_lo_u32 v10, v64, s25
	s_load_dwordx2 s[0:1], s[6:7], 0x0
	v_mad_u64_u32 v[8:9], null, v64, s24, 0
	s_load_dwordx2 s[24:25], s[2:3], 0x0
	s_add_u32 s22, s22, 1
	s_addc_u32 s23, s23, 0
	s_add_u32 s2, s2, 8
	s_addc_u32 s3, s3, 0
	s_add_u32 s6, s6, 8
	v_add3_u32 v4, v9, v10, v4
	v_sub_co_u32 v5, vcc_lo, v5, v8
	s_addc_u32 s7, s7, 0
	s_add_u32 s20, s20, 8
	v_sub_co_ci_u32_e32 v4, vcc_lo, v6, v4, vcc_lo
	s_addc_u32 s21, s21, 0
	s_waitcnt lgkmcnt(0)
	v_mul_lo_u32 v6, s0, v4
	v_mul_lo_u32 v8, s1, v5
	v_mad_u64_u32 v[1:2], null, s0, v5, v[1:2]
	v_mul_lo_u32 v4, s24, v4
	v_mul_lo_u32 v9, s25, v5
	v_mad_u64_u32 v[60:61], null, s24, v5, v[60:61]
	v_cmp_ge_u64_e64 s0, s[22:23], s[14:15]
	v_add3_u32 v2, v8, v2, v6
	v_add3_u32 v61, v9, v61, v4
	s_and_b32 vcc_lo, exec_lo, s0
	s_cbranch_vccnz .LBB0_9
; %bb.7:                                ;   in Loop: Header=BB0_2 Depth=1
	v_mov_b32_e32 v5, v64
	v_mov_b32_e32 v6, v65
	s_branch .LBB0_2
.LBB0_8:
	v_mov_b32_e32 v61, v2
	v_mov_b32_e32 v65, v6
	;; [unrolled: 1-line block ×4, first 2 shown]
.LBB0_9:
	s_load_dwordx2 s[0:1], s[4:5], 0x28
	s_lshl_b64 s[4:5], s[14:15], 3
	v_and_b32_e32 v62, 15, v0
	s_add_u32 s2, s18, s4
	s_addc_u32 s3, s19, s5
                                        ; implicit-def: $vgpr4_vgpr5
	s_waitcnt lgkmcnt(0)
	v_cmp_gt_u64_e32 vcc_lo, s[0:1], v[64:65]
	v_cmp_le_u64_e64 s0, s[0:1], v[64:65]
	s_and_saveexec_b32 s1, s0
	s_xor_b32 s0, exec_lo, s1
; %bb.10:
	v_and_b32_e32 v62, 15, v0
	v_mov_b32_e32 v63, 0
                                        ; implicit-def: $vgpr1_vgpr2
	v_mov_b32_e32 v4, v62
	v_mov_b32_e32 v5, v63
; %bb.11:
	s_or_saveexec_b32 s1, s0
	s_load_dwordx2 s[2:3], s[2:3], 0x0
	v_mul_u32_u24_e32 v0, 0x141, v7
                                        ; implicit-def: $vgpr66
	v_lshlrev_b32_e32 v76, 4, v0
	s_xor_b32 exec_lo, exec_lo, s1
	s_cbranch_execz .LBB0_15
; %bb.12:
	s_add_u32 s4, s16, s4
	s_addc_u32 s5, s17, s5
	v_lshlrev_b64 v[1:2], 4, v[1:2]
	s_load_dwordx2 s[4:5], s[4:5], 0x0
	v_lshlrev_b32_e32 v97, 4, v62
	v_mov_b32_e32 v63, 0
	v_or_b32_e32 v7, 0x800, v97
	v_or_b32_e32 v8, 0x900, v97
	;; [unrolled: 1-line block ×10, first 2 shown]
	s_waitcnt lgkmcnt(0)
	v_mul_lo_u32 v5, s5, v64
	v_mul_lo_u32 v6, s4, v65
	v_mad_u64_u32 v[3:4], null, s4, v64, 0
	v_add3_u32 v4, v4, v6, v5
	v_or_b32_e32 v5, 0xa00, v97
	v_or_b32_e32 v6, 0xb00, v97
	v_lshlrev_b64 v[3:4], 4, v[3:4]
	v_add_co_u32 v3, s0, s8, v3
	v_add_co_ci_u32_e64 v4, s0, s9, v4, s0
	v_add_co_u32 v1, s0, v3, v1
	v_add_co_ci_u32_e64 v2, s0, v4, v2, s0
	;; [unrolled: 2-line block ×15, first 2 shown]
	s_clause 0x13
	global_load_dwordx4 v[6:9], v[3:4], off
	global_load_dwordx4 v[10:13], v[3:4], off offset:256
	global_load_dwordx4 v[14:17], v[3:4], off offset:512
	;; [unrolled: 1-line block ×7, first 2 shown]
	global_load_dwordx4 v[38:41], v[38:39], off
	global_load_dwordx4 v[42:45], v[42:43], off
	;; [unrolled: 1-line block ×12, first 2 shown]
	v_mov_b32_e32 v4, v62
	v_add3_u32 v3, 0, v76, v97
	v_cmp_eq_u32_e64 s0, 15, v62
	v_mov_b32_e32 v5, v63
	s_waitcnt vmcnt(19)
	ds_write_b128 v3, v[6:9]
	s_waitcnt vmcnt(18)
	ds_write_b128 v3, v[10:13] offset:256
	s_waitcnt vmcnt(17)
	ds_write_b128 v3, v[14:17] offset:512
	;; [unrolled: 2-line block ×19, first 2 shown]
	s_and_saveexec_b32 s4, s0
	s_cbranch_execz .LBB0_14
; %bb.13:
	v_add_co_u32 v1, s0, 0x1000, v1
	v_add_co_ci_u32_e64 v2, s0, 0, v2, s0
	v_mov_b32_e32 v4, 15
	v_mov_b32_e32 v5, 0
	;; [unrolled: 1-line block ×3, first 2 shown]
	global_load_dwordx4 v[6:9], v[1:2], off offset:1024
	s_waitcnt vmcnt(0)
	ds_write_b128 v3, v[6:9] offset:4880
.LBB0_14:
	s_or_b32 exec_lo, exec_lo, s4
	v_mov_b32_e32 v66, v62
.LBB0_15:
	s_or_b32 exec_lo, exec_lo, s1
	v_lshl_add_u32 v75, v0, 4, 0
	v_lshlrev_b32_e32 v15, 4, v62
	s_waitcnt lgkmcnt(0)
	s_barrier
	buffer_gl0_inv
	v_lshlrev_b64 v[69:70], 4, v[4:5]
	v_add_nc_u32_e32 v77, v75, v15
	v_sub_nc_u32_e32 v14, v75, v15
	s_add_u32 s1, s12, 0x1360
	s_addc_u32 s4, s13, 0
	ds_read_b64 v[6:7], v77
	ds_read_b64 v[8:9], v14 offset:5120
	s_mov_b32 s5, exec_lo
	s_waitcnt lgkmcnt(0)
	v_add_f64 v[0:1], v[6:7], v[8:9]
	v_add_f64 v[2:3], v[6:7], -v[8:9]
	v_cmpx_ne_u32_e32 0, v62
	s_xor_b32 s5, exec_lo, s5
	s_cbranch_execz .LBB0_17
; %bb.16:
	v_add_co_u32 v0, s0, s1, v69
	v_add_co_ci_u32_e64 v1, s0, s4, v70, s0
	v_add_f64 v[12:13], v[6:7], v[8:9]
	v_add_f64 v[8:9], v[6:7], -v[8:9]
	global_load_dwordx4 v[2:5], v[0:1], off
	ds_read_b64 v[0:1], v14 offset:5128
	ds_read_b64 v[10:11], v77 offset:8
	s_waitcnt lgkmcnt(0)
	v_add_f64 v[6:7], v[0:1], v[10:11]
	v_add_f64 v[0:1], v[10:11], -v[0:1]
	s_waitcnt vmcnt(0)
	v_fma_f64 v[10:11], v[8:9], v[4:5], v[12:13]
	v_fma_f64 v[12:13], -v[8:9], v[4:5], v[12:13]
	v_fma_f64 v[16:17], v[6:7], v[4:5], -v[0:1]
	v_fma_f64 v[18:19], v[6:7], v[4:5], v[0:1]
	v_fma_f64 v[0:1], -v[6:7], v[2:3], v[10:11]
	v_fma_f64 v[4:5], v[6:7], v[2:3], v[12:13]
	v_fma_f64 v[6:7], v[8:9], v[2:3], v[16:17]
	;; [unrolled: 1-line block ×3, first 2 shown]
	ds_write_b128 v14, v[4:7] offset:5120
.LBB0_17:
	s_andn2_saveexec_b32 s0, s5
	s_cbranch_execz .LBB0_19
; %bb.18:
	ds_read_b128 v[4:7], v75 offset:2560
	s_waitcnt lgkmcnt(0)
	v_add_f64 v[4:5], v[4:5], v[4:5]
	v_mul_f64 v[6:7], v[6:7], -2.0
	ds_write_b128 v75, v[4:7] offset:2560
.LBB0_19:
	s_or_b32 exec_lo, exec_lo, s0
	v_mov_b32_e32 v63, 0
	v_add3_u32 v78, 0, v15, v76
	v_or_b32_e32 v79, 32, v62
	v_mul_u32_u24_e32 v15, 10, v62
	v_or_b32_e32 v59, 48, v62
	v_lshlrev_b64 v[67:68], 4, v[62:63]
	s_mov_b32 s15, 0xbfee6f0e
	v_and_b32_e32 v194, 0xff, v79
	v_lshlrev_b32_e32 v15, 4, v15
	v_and_b32_e32 v195, 0xff, v59
	s_mov_b32 s6, 0x4755a5e
	v_add_co_u32 v12, s0, s1, v67
	v_add_co_ci_u32_e64 v13, s0, s4, v68, s0
	s_mov_b32 s7, 0x3fe2cf23
	s_mov_b32 s8, 0x372fe950
	;; [unrolled: 1-line block ×3, first 2 shown]
	s_clause 0x2
	global_load_dwordx4 v[4:7], v[12:13], off offset:256
	global_load_dwordx4 v[8:11], v[12:13], off offset:512
	;; [unrolled: 1-line block ×3, first 2 shown]
	ds_write_b128 v77, v[0:3]
	ds_read_b128 v[0:3], v77 offset:256
	ds_read_b128 v[20:23], v14 offset:4864
	global_load_dwordx4 v[24:27], v[12:13], off offset:1024
	s_mov_b32 s16, 0x9b97f4a8
	s_mov_b32 s17, 0x3fe9e377
	v_or_b32_e32 v193, 64, v62
	s_waitcnt lgkmcnt(0)
	v_add_f64 v[28:29], v[0:1], v[20:21]
	v_add_f64 v[30:31], v[22:23], v[2:3]
	v_add_f64 v[32:33], v[0:1], -v[20:21]
	v_add_f64 v[0:1], v[2:3], -v[22:23]
	s_waitcnt vmcnt(3)
	v_fma_f64 v[2:3], v[32:33], v[6:7], v[28:29]
	v_fma_f64 v[20:21], v[30:31], v[6:7], v[0:1]
	v_fma_f64 v[22:23], -v[32:33], v[6:7], v[28:29]
	v_fma_f64 v[6:7], v[30:31], v[6:7], -v[0:1]
	v_fma_f64 v[0:1], -v[30:31], v[4:5], v[2:3]
	v_fma_f64 v[2:3], v[32:33], v[4:5], v[20:21]
	v_fma_f64 v[20:21], v[30:31], v[4:5], v[22:23]
	v_fma_f64 v[22:23], v[32:33], v[4:5], v[6:7]
	ds_write_b128 v77, v[0:3] offset:256
	ds_write_b128 v14, v[20:23] offset:4864
	ds_read_b128 v[0:3], v77 offset:512
	ds_read_b128 v[4:7], v14 offset:4608
	global_load_dwordx4 v[20:23], v[12:13], off offset:1280
	s_waitcnt lgkmcnt(0)
	v_add_f64 v[28:29], v[0:1], v[4:5]
	v_add_f64 v[30:31], v[6:7], v[2:3]
	v_add_f64 v[32:33], v[0:1], -v[4:5]
	v_add_f64 v[0:1], v[2:3], -v[6:7]
	s_waitcnt vmcnt(3)
	v_fma_f64 v[2:3], v[32:33], v[10:11], v[28:29]
	v_fma_f64 v[4:5], v[30:31], v[10:11], v[0:1]
	v_fma_f64 v[6:7], -v[32:33], v[10:11], v[28:29]
	v_fma_f64 v[10:11], v[30:31], v[10:11], -v[0:1]
	v_fma_f64 v[0:1], -v[30:31], v[8:9], v[2:3]
	v_fma_f64 v[2:3], v[32:33], v[8:9], v[4:5]
	v_fma_f64 v[4:5], v[30:31], v[8:9], v[6:7]
	v_fma_f64 v[6:7], v[32:33], v[8:9], v[10:11]
	ds_write_b128 v77, v[0:3] offset:512
	ds_write_b128 v14, v[4:7] offset:4608
	ds_read_b128 v[0:3], v77 offset:768
	ds_read_b128 v[4:7], v14 offset:4352
	global_load_dwordx4 v[8:11], v[12:13], off offset:1536
	;; [unrolled: 19-line block ×3, first 2 shown]
	s_waitcnt lgkmcnt(0)
	v_add_f64 v[12:13], v[0:1], v[4:5]
	v_add_f64 v[28:29], v[6:7], v[2:3]
	v_add_f64 v[30:31], v[0:1], -v[4:5]
	v_add_f64 v[0:1], v[2:3], -v[6:7]
	s_waitcnt vmcnt(3)
	v_fma_f64 v[2:3], v[30:31], v[26:27], v[12:13]
	v_fma_f64 v[4:5], v[28:29], v[26:27], v[0:1]
	v_fma_f64 v[6:7], -v[30:31], v[26:27], v[12:13]
	v_fma_f64 v[12:13], v[28:29], v[26:27], -v[0:1]
	v_fma_f64 v[0:1], -v[28:29], v[24:25], v[2:3]
	v_fma_f64 v[2:3], v[30:31], v[24:25], v[4:5]
	v_fma_f64 v[4:5], v[28:29], v[24:25], v[6:7]
	;; [unrolled: 1-line block ×3, first 2 shown]
	v_or_b32_e32 v12, 0x80, v62
	v_mov_b32_e32 v13, v63
	ds_write_b128 v77, v[0:3] offset:1024
	ds_write_b128 v14, v[4:7] offset:4096
	v_lshlrev_b64 v[71:72], 4, v[12:13]
	ds_read_b128 v[0:3], v77 offset:1280
	ds_read_b128 v[4:7], v14 offset:3840
	v_add_co_u32 v12, s0, s1, v71
	v_add_co_ci_u32_e64 v13, s0, s4, v72, s0
	global_load_dwordx4 v[24:27], v[12:13], off
	s_waitcnt lgkmcnt(0)
	v_add_f64 v[12:13], v[0:1], v[4:5]
	v_add_f64 v[28:29], v[6:7], v[2:3]
	v_add_f64 v[30:31], v[0:1], -v[4:5]
	v_add_f64 v[0:1], v[2:3], -v[6:7]
	s_waitcnt vmcnt(3)
	v_fma_f64 v[2:3], v[30:31], v[22:23], v[12:13]
	v_fma_f64 v[4:5], v[28:29], v[22:23], v[0:1]
	v_fma_f64 v[6:7], -v[30:31], v[22:23], v[12:13]
	v_fma_f64 v[12:13], v[28:29], v[22:23], -v[0:1]
	v_fma_f64 v[0:1], -v[28:29], v[20:21], v[2:3]
	v_fma_f64 v[2:3], v[30:31], v[20:21], v[4:5]
	v_fma_f64 v[4:5], v[28:29], v[20:21], v[6:7]
	;; [unrolled: 1-line block ×3, first 2 shown]
	v_or_b32_e32 v12, 0x90, v62
	v_mov_b32_e32 v13, v63
	ds_write_b128 v77, v[0:3] offset:1280
	ds_write_b128 v14, v[4:7] offset:3840
	v_lshlrev_b64 v[73:74], 4, v[12:13]
	ds_read_b128 v[4:7], v77 offset:1536
	ds_read_b128 v[20:23], v14 offset:3584
	v_add_co_u32 v12, s0, s1, v73
	v_add_co_ci_u32_e64 v13, s0, s4, v74, s0
	v_cmp_gt_u32_e64 s0, 10, v62
	s_mov_b32 s4, 0x134454ff
	s_mov_b32 s5, 0x3fee6f0e
	global_load_dwordx4 v[0:3], v[12:13], off
	s_mov_b32 s14, s4
	s_mov_b32 s1, 0xbfe2cf23
	s_waitcnt lgkmcnt(0)
	v_add_f64 v[12:13], v[4:5], v[20:21]
	v_add_f64 v[28:29], v[22:23], v[6:7]
	v_add_f64 v[20:21], v[4:5], -v[20:21]
	v_add_f64 v[4:5], v[6:7], -v[22:23]
	s_waitcnt vmcnt(3)
	v_fma_f64 v[6:7], v[20:21], v[10:11], v[12:13]
	v_fma_f64 v[22:23], v[28:29], v[10:11], v[4:5]
	v_fma_f64 v[12:13], -v[20:21], v[10:11], v[12:13]
	v_fma_f64 v[30:31], v[28:29], v[10:11], -v[4:5]
	v_fma_f64 v[4:5], -v[28:29], v[8:9], v[6:7]
	v_fma_f64 v[6:7], v[20:21], v[8:9], v[22:23]
	v_fma_f64 v[10:11], v[28:29], v[8:9], v[12:13]
	v_fma_f64 v[12:13], v[20:21], v[8:9], v[30:31]
	ds_write_b128 v77, v[4:7] offset:1536
	ds_write_b128 v14, v[10:13] offset:3584
	ds_read_b128 v[4:7], v77 offset:1792
	ds_read_b128 v[8:11], v14 offset:3328
	s_waitcnt lgkmcnt(0)
	v_add_f64 v[12:13], v[4:5], v[8:9]
	v_add_f64 v[20:21], v[10:11], v[6:7]
	v_add_f64 v[22:23], v[4:5], -v[8:9]
	v_add_f64 v[4:5], v[6:7], -v[10:11]
	s_waitcnt vmcnt(2)
	v_fma_f64 v[6:7], v[22:23], v[18:19], v[12:13]
	v_fma_f64 v[8:9], v[20:21], v[18:19], v[4:5]
	v_fma_f64 v[10:11], -v[22:23], v[18:19], v[12:13]
	v_fma_f64 v[12:13], v[20:21], v[18:19], -v[4:5]
	v_fma_f64 v[4:5], -v[20:21], v[16:17], v[6:7]
	v_fma_f64 v[6:7], v[22:23], v[16:17], v[8:9]
	v_fma_f64 v[8:9], v[20:21], v[16:17], v[10:11]
	v_fma_f64 v[10:11], v[22:23], v[16:17], v[12:13]
	ds_write_b128 v77, v[4:7] offset:1792
	ds_write_b128 v14, v[8:11] offset:3328
	ds_read_b128 v[4:7], v77 offset:2048
	ds_read_b128 v[8:11], v14 offset:3072
	;; [unrolled: 18-line block ×3, first 2 shown]
	s_waitcnt lgkmcnt(0)
	v_add_f64 v[16:17], v[6:7], v[10:11]
	v_add_f64 v[4:5], v[12:13], v[8:9]
	v_add_f64 v[6:7], v[6:7], -v[10:11]
	v_add_f64 v[18:19], v[8:9], -v[12:13]
	s_waitcnt vmcnt(0)
	v_fma_f64 v[8:9], v[6:7], v[2:3], v[16:17]
	v_fma_f64 v[10:11], v[4:5], v[2:3], v[18:19]
	v_fma_f64 v[12:13], -v[6:7], v[2:3], v[16:17]
	v_fma_f64 v[2:3], v[4:5], v[2:3], -v[18:19]
	v_add_nc_u32_e32 v17, -10, v62
	v_or_b32_e32 v16, 16, v62
	v_cndmask_b32_e64 v80, v17, v62, s0
	v_fma_f64 v[8:9], -v[4:5], v[0:1], v[8:9]
	v_fma_f64 v[10:11], v[6:7], v[0:1], v[10:11]
	v_fma_f64 v[4:5], v[4:5], v[0:1], v[12:13]
	;; [unrolled: 1-line block ×3, first 2 shown]
	v_mov_b32_e32 v2, v63
	v_mul_i32_i24_e32 v1, 3, v80
	v_and_b32_e32 v3, 0xff, v16
	ds_write_b128 v77, v[8:11] offset:2304
	ds_write_b128 v14, v[4:7] offset:2816
	v_lshlrev_b64 v[21:22], 4, v[1:2]
	v_mul_lo_u16 v196, 0xcd, v3
	s_waitcnt lgkmcnt(0)
	s_barrier
	buffer_gl0_inv
	s_barrier
	buffer_gl0_inv
	ds_read_b128 v[1:4], v78 offset:1024
	ds_read_b128 v[5:8], v77
	ds_read_b128 v[9:12], v78 offset:2048
	ds_read_b128 v[17:20], v78 offset:3072
	v_add_co_u32 v57, s0, s12, v21
	v_add_co_ci_u32_e64 v58, s0, s13, v22, s0
	ds_read_b128 v[21:24], v78 offset:256
	ds_read_b128 v[25:28], v78 offset:1280
	;; [unrolled: 1-line block ×16, first 2 shown]
	s_mov_b32 s0, s6
	v_mov_b32_e32 v0, 3
	s_waitcnt lgkmcnt(0)
	s_barrier
	buffer_gl0_inv
	v_add_f64 v[177:178], v[21:22], v[25:26]
	v_add_f64 v[179:180], v[23:24], v[27:28]
	;; [unrolled: 1-line block ×10, first 2 shown]
	v_add_f64 v[113:114], v[11:12], -v[19:20]
	v_add_f64 v[115:116], v[1:2], -v[9:10]
	;; [unrolled: 1-line block ×3, first 2 shown]
	v_add_f64 v[119:120], v[11:12], v[19:20]
	v_add_f64 v[121:122], v[9:10], -v[17:18]
	v_add_f64 v[123:124], v[3:4], -v[11:12]
	;; [unrolled: 1-line block ×4, first 2 shown]
	v_add_f64 v[129:130], v[1:2], v[37:38]
	v_add_f64 v[133:134], v[47:48], v[51:52]
	;; [unrolled: 1-line block ×10, first 2 shown]
	v_add_f64 v[145:146], v[49:50], -v[81:82]
	v_add_f64 v[9:10], v[13:14], v[9:10]
	v_add_f64 v[11:12], v[109:110], v[11:12]
	v_add_f64 v[13:14], v[55:56], v[103:104]
	v_add_f64 v[109:110], v[105:106], v[53:54]
	v_add_f64 v[147:148], v[81:82], -v[49:50]
	v_add_f64 v[151:152], v[81:82], -v[89:90]
	v_add_f64 v[131:132], v[131:132], v[81:82]
	v_add_f64 v[81:82], v[107:108], v[55:56]
	v_add_f64 v[135:136], v[37:38], -v[17:18]
	v_add_f64 v[171:172], v[97:98], -v[89:90]
	;; [unrolled: 1-line block ×10, first 2 shown]
	v_add_f64 v[133:134], v[133:134], v[83:84]
	v_add_f64 v[189:190], v[31:32], -v[35:36]
	v_fma_f64 v[111:112], v[111:112], -0.5, v[5:6]
	v_fma_f64 v[5:6], v[129:130], -0.5, v[5:6]
	;; [unrolled: 1-line block ×4, first 2 shown]
	v_add_f64 v[7:8], v[25:26], -v[29:30]
	v_add_f64 v[129:130], v[29:30], -v[25:26]
	v_fma_f64 v[141:142], v[141:142], -0.5, v[45:46]
	v_fma_f64 v[45:46], v[153:154], -0.5, v[45:46]
	;; [unrolled: 1-line block ×4, first 2 shown]
	v_add_f64 v[153:154], v[29:30], -v[33:34]
	v_add_f64 v[157:158], v[27:28], -v[31:32]
	v_fma_f64 v[159:160], v[159:160], -0.5, v[21:22]
	v_fma_f64 v[21:22], v[161:162], -0.5, v[21:22]
	;; [unrolled: 1-line block ×3, first 2 shown]
	v_add_f64 v[163:164], v[31:32], -v[27:28]
	v_fma_f64 v[183:184], v[183:184], -0.5, v[105:106]
	v_fma_f64 v[105:106], v[185:186], -0.5, v[105:106]
	;; [unrolled: 1-line block ×4, first 2 shown]
	v_add_f64 v[107:108], v[53:54], -v[85:86]
	v_add_f64 v[187:188], v[85:86], -v[53:54]
	v_add_f64 v[29:30], v[177:178], v[29:30]
	v_add_f64 v[31:32], v[179:180], v[31:32]
	v_add_f64 v[177:178], v[85:86], -v[93:94]
	v_add_f64 v[85:86], v[109:110], v[85:86]
	v_add_f64 v[191:192], v[41:42], -v[33:34]
	;; [unrolled: 2-line block ×3, first 2 shown]
	v_add_f64 v[139:140], v[39:40], -v[19:20]
	v_add_f64 v[169:170], v[19:20], -v[39:40]
	v_fma_f64 v[23:24], v[165:166], -0.5, v[23:24]
	v_add_f64 v[165:166], v[87:88], -v[95:96]
	v_add_f64 v[179:180], v[55:56], -v[87:88]
	;; [unrolled: 1-line block ×4, first 2 shown]
	v_add_f64 v[115:116], v[115:116], v[135:136]
	v_add_f64 v[135:136], v[33:34], -v[41:42]
	v_add_f64 v[145:146], v[145:146], v[171:172]
	v_add_f64 v[171:172], v[35:36], -v[43:44]
	v_add_f64 v[1:2], v[1:2], -v[37:38]
	v_add_f64 v[155:156], v[155:156], v[175:176]
	v_add_f64 v[175:176], v[101:102], -v[93:94]
	v_add_f64 v[147:148], v[147:148], v[173:174]
	;; [unrolled: 2-line block ×3, first 2 shown]
	v_add_f64 v[137:138], v[103:104], -v[95:96]
	v_add_f64 v[53:54], v[53:54], -v[101:102]
	v_mul_lo_u16 v81, 0xcd, v194
	v_lshrrev_b16 v82, 11, v196
	v_mul_lo_u16 v84, 0xcd, v195
	v_add_f64 v[167:168], v[167:168], v[181:182]
	v_add3_u32 v195, 0, v15, v76
	v_lshrrev_b16 v83, 11, v81
	v_mul_lo_u16 v81, v82, 10
	v_add_f64 v[181:182], v[7:8], v[191:192]
	v_add_f64 v[7:8], v[9:10], v[17:18]
	;; [unrolled: 1-line block ×4, first 2 shown]
	v_sub_nc_u16 v81, v16, v81
	v_add_f64 v[15:16], v[133:134], v[91:92]
	v_add_f64 v[17:18], v[29:30], v[33:34]
	;; [unrolled: 1-line block ×4, first 2 shown]
	v_fma_f64 v[85:86], v[143:144], s[14:15], v[45:46]
	v_fma_f64 v[45:46], v[143:144], s[4:5], v[45:46]
	;; [unrolled: 1-line block ×5, first 2 shown]
	v_add_f64 v[31:32], v[109:110], v[95:96]
	v_fma_f64 v[95:96], v[51:52], s[14:15], v[141:142]
	v_fma_f64 v[133:134], v[49:50], s[4:5], v[149:150]
	v_add_f64 v[27:28], v[27:28], -v[43:44]
	v_add_f64 v[123:124], v[123:124], v[139:140]
	v_add_f64 v[139:140], v[43:44], -v[35:36]
	v_add_f64 v[125:126], v[125:126], v[169:170]
	;; [unrolled: 2-line block ×3, first 2 shown]
	v_add_f64 v[135:136], v[163:164], v[171:172]
	v_fma_f64 v[141:142], v[55:56], s[4:5], v[183:184]
	v_fma_f64 v[163:164], v[189:190], s[14:15], v[21:22]
	;; [unrolled: 1-line block ×3, first 2 shown]
	v_add_f64 v[107:108], v[107:108], v[175:176]
	v_add_f64 v[87:88], v[87:88], v[173:174]
	v_fma_f64 v[93:94], v[127:128], s[4:5], v[111:112]
	v_fma_f64 v[109:110], v[127:128], s[14:15], v[111:112]
	;; [unrolled: 1-line block ×6, first 2 shown]
	v_add_f64 v[25:26], v[25:26], -v[41:42]
	v_add_f64 v[137:138], v[179:180], v[137:138]
	v_fma_f64 v[119:120], v[1:2], s[4:5], v[119:120]
	v_fma_f64 v[179:180], v[153:154], s[4:5], v[23:24]
	;; [unrolled: 1-line block ×10, first 2 shown]
	v_add_f64 v[19:20], v[19:20], v[43:44]
	v_fma_f64 v[43:44], v[51:52], s[0:1], v[45:46]
	v_fma_f64 v[45:46], v[49:50], s[0:1], v[89:90]
	;; [unrolled: 1-line block ×6, first 2 shown]
	v_add_f64 v[7:8], v[7:8], v[37:38]
	v_add_f64 v[9:10], v[9:10], v[39:40]
	v_add_f64 v[11:12], v[11:12], v[97:98]
	v_add_f64 v[15:16], v[15:16], v[99:100]
	v_add_f64 v[17:18], v[17:18], v[41:42]
	v_add_f64 v[29:30], v[29:30], v[101:102]
	v_add_f64 v[31:32], v[31:32], v[103:104]
	v_fma_f64 v[41:42], v[51:52], s[6:7], v[85:86]
	v_fma_f64 v[51:52], v[143:144], s[0:1], v[95:96]
	;; [unrolled: 1-line block ×3, first 2 shown]
	v_add_f64 v[139:140], v[157:158], v[139:140]
	v_add_f64 v[157:158], v[187:188], v[169:170]
	v_fma_f64 v[169:170], v[27:28], s[4:5], v[159:160]
	v_fma_f64 v[159:160], v[27:28], s[14:15], v[159:160]
	;; [unrolled: 1-line block ×25, first 2 shown]
	v_add_f64 v[1:2], v[7:8], v[11:12]
	v_add_f64 v[3:4], v[9:10], v[15:16]
	v_add_f64 v[5:6], v[7:8], -v[11:12]
	v_add_f64 v[7:8], v[9:10], -v[15:16]
	v_add_f64 v[9:10], v[17:18], v[29:30]
	v_add_f64 v[11:12], v[19:20], v[31:32]
	v_add_f64 v[13:14], v[17:18], -v[29:30]
	v_add_f64 v[15:16], v[19:20], -v[31:32]
	v_fma_f64 v[19:20], v[167:168], s[8:9], v[45:46]
	v_fma_f64 v[29:30], v[147:148], s[8:9], v[41:42]
	;; [unrolled: 1-line block ×17, first 2 shown]
	v_mul_f64 v[95:96], v[49:50], s[16:17]
	v_mul_f64 v[49:50], v[49:50], s[0:1]
	v_fma_f64 v[33:34], v[117:118], s[8:9], v[33:34]
	v_fma_f64 v[37:38], v[117:118], s[8:9], v[37:38]
	;; [unrolled: 1-line block ×3, first 2 shown]
	v_mul_f64 v[97:98], v[19:20], s[4:5]
	v_mul_f64 v[107:108], v[29:30], s[14:15]
	;; [unrolled: 1-line block ×6, first 2 shown]
	v_fma_f64 v[103:104], v[189:190], s[6:7], v[169:170]
	v_fma_f64 v[109:110], v[153:154], s[0:1], v[171:172]
	;; [unrolled: 1-line block ×4, first 2 shown]
	v_mul_f64 v[123:124], v[27:28], s[16:17]
	v_mul_f64 v[27:28], v[27:28], s[0:1]
	v_fma_f64 v[35:36], v[125:126], s[8:9], v[35:36]
	v_fma_f64 v[39:40], v[125:126], s[8:9], v[39:40]
	v_mul_f64 v[125:126], v[85:86], s[4:5]
	v_mul_f64 v[127:128], v[91:92], s[14:15]
	v_fma_f64 v[121:122], v[153:154], s[6:7], v[161:162]
	v_mul_f64 v[131:132], v[25:26], s[8:9]
	v_mul_f64 v[133:134], v[53:54], s[8:9]
	v_fma_f64 v[105:106], v[189:190], s[0:1], v[159:160]
	v_mul_f64 v[137:138], v[55:56], s[16:17]
	v_mul_f64 v[141:142], v[87:88], s[16:17]
	v_fma_f64 v[95:96], v[17:18], s[6:7], v[95:96]
	v_fma_f64 v[49:50], v[17:18], s[16:17], v[49:50]
	;; [unrolled: 1-line block ×4, first 2 shown]
	v_fma_f64 v[45:46], v[45:46], s[4:5], -v[111:112]
	v_fma_f64 v[43:44], v[43:44], s[14:15], -v[113:114]
	;; [unrolled: 1-line block ×4, first 2 shown]
	v_fma_f64 v[103:104], v[181:182], s[8:9], v[103:104]
	v_fma_f64 v[109:110], v[139:140], s[8:9], v[109:110]
	;; [unrolled: 1-line block ×11, first 2 shown]
	v_fma_f64 v[117:118], v[53:54], s[4:5], -v[131:132]
	v_fma_f64 v[121:122], v[25:26], s[14:15], -v[133:134]
	v_fma_f64 v[105:106], v[181:182], s[8:9], v[105:106]
	v_fma_f64 v[123:124], v[87:88], s[6:7], -v[137:138]
	v_fma_f64 v[125:126], v[55:56], s[0:1], -v[141:142]
	v_add_f64 v[17:18], v[31:32], v[95:96]
	v_add_f64 v[19:20], v[41:42], v[49:50]
	;; [unrolled: 1-line block ×4, first 2 shown]
	v_add_f64 v[21:22], v[31:32], -v[95:96]
	v_add_f64 v[29:30], v[33:34], -v[29:30]
	;; [unrolled: 1-line block ×3, first 2 shown]
	v_add_f64 v[33:34], v[37:38], v[45:46]
	v_add_f64 v[35:36], v[39:40], v[43:44]
	v_add_f64 v[23:24], v[41:42], -v[49:50]
	v_add_f64 v[39:40], v[39:40], -v[43:44]
	v_add_f64 v[41:42], v[89:90], v[51:52]
	v_add_f64 v[43:44], v[93:94], v[47:48]
	v_add_f64 v[37:38], v[37:38], -v[45:46]
	v_add_f64 v[45:46], v[89:90], -v[51:52]
	;; [unrolled: 1-line block ×3, first 2 shown]
	v_add_f64 v[49:50], v[103:104], v[113:114]
	v_add_f64 v[51:52], v[109:110], v[101:102]
	;; [unrolled: 1-line block ×6, first 2 shown]
	v_add_f64 v[89:90], v[99:100], -v[91:92]
	v_add_f64 v[97:98], v[105:106], v[123:124]
	v_add_f64 v[99:100], v[111:112], v[125:126]
	v_add_f64 v[53:54], v[103:104], -v[113:114]
	v_add_f64 v[55:56], v[109:110], -v[101:102]
	v_and_b32_e32 v194, 0xff, v193
	v_add_f64 v[91:92], v[119:120], -v[115:116]
	v_add_f64 v[101:102], v[107:108], -v[117:118]
	v_add_f64 v[103:104], v[129:130], -v[121:122]
	v_add_f64 v[105:106], v[105:106], -v[123:124]
	v_add_f64 v[107:108], v[111:112], -v[125:126]
	ds_write_b128 v195, v[1:4]
	ds_write_b128 v195, v[5:8] offset:80
	ds_write_b128 v195, v[9:12] offset:2560
	;; [unrolled: 1-line block ×19, first 2 shown]
	v_mul_lo_u16 v1, 0xcd, v194
	v_mul_u32_u24_sdwa v3, v81, v0 dst_sel:DWORD dst_unused:UNUSED_PAD src0_sel:BYTE_0 src1_sel:DWORD
	v_lshrrev_b16 v84, 11, v84
	v_mul_lo_u16 v196, v83, 10
	s_waitcnt lgkmcnt(0)
	s_barrier
	buffer_gl0_inv
	s_clause 0x1
	global_load_dwordx4 v[36:39], v[57:58], off
	global_load_dwordx4 v[40:43], v[57:58], off offset:16
	v_lshrrev_b16 v88, 11, v1
	v_lshlrev_b32_e32 v1, 4, v3
	v_mul_lo_u16 v2, v84, 10
	v_sub_nc_u16 v87, v79, v196
	global_load_dwordx4 v[48:51], v[57:58], off offset:32
	v_cmp_lt_u32_e64 s0, 9, v62
	s_clause 0x1
	global_load_dwordx4 v[32:35], v1, s[12:13]
	global_load_dwordx4 v[28:31], v1, s[12:13] offset:16
	v_mul_u32_u24_sdwa v3, v87, v0 dst_sel:DWORD dst_unused:UNUSED_PAD src0_sel:BYTE_0 src1_sel:DWORD
	v_sub_nc_u16 v85, v59, v2
	v_mul_lo_u16 v2, v88, 10
	v_cndmask_b32_e64 v90, 0, 0x280, s0
	v_lshlrev_b32_e32 v80, 4, v80
	v_lshlrev_b32_e32 v3, 4, v3
	v_mul_u32_u24_sdwa v4, v85, v0 dst_sel:DWORD dst_unused:UNUSED_PAD src0_sel:BYTE_0 src1_sel:DWORD
	v_sub_nc_u16 v86, v193, v2
	s_clause 0x3
	global_load_dwordx4 v[24:27], v1, s[12:13] offset:32
	global_load_dwordx4 v[16:19], v3, s[12:13]
	global_load_dwordx4 v[12:15], v3, s[12:13] offset:16
	global_load_dwordx4 v[8:11], v3, s[12:13] offset:32
	v_mul_u32_u24_sdwa v0, v86, v0 dst_sel:DWORD dst_unused:UNUSED_PAD src0_sel:BYTE_0 src1_sel:DWORD
	v_lshlrev_b32_e32 v1, 4, v4
	s_clause 0x1
	global_load_dwordx4 v[20:23], v1, s[12:13]
	global_load_dwordx4 v[4:7], v1, s[12:13] offset:16
	v_lshlrev_b32_e32 v56, 4, v0
	s_clause 0x3
	global_load_dwordx4 v[0:3], v1, s[12:13] offset:32
	global_load_dwordx4 v[44:47], v56, s[12:13]
	global_load_dwordx4 v[52:55], v56, s[12:13] offset:16
	global_load_dwordx4 v[56:59], v56, s[12:13] offset:32
	v_add_nc_u32_e32 v98, 0, v90
	ds_read_b128 v[90:93], v78 offset:1280
	ds_read_b128 v[94:97], v78 offset:2560
	v_and_b32_e32 v82, 0xffff, v82
	v_and_b32_e32 v83, 0xffff, v83
	v_add3_u32 v180, v98, v80, v76
	ds_read_b128 v[98:101], v78 offset:3840
	ds_read_b128 v[102:105], v78 offset:2816
	;; [unrolled: 1-line block ×12, first 2 shown]
	v_mad_u32_u24 v181, 0x280, v82, 0
	v_mad_u32_u24 v182, 0x280, v83, 0
	ds_read_b128 v[146:149], v78 offset:4608
	ds_read_b128 v[150:153], v78 offset:4864
	ds_read_b128 v[154:157], v77
	ds_read_b128 v[158:161], v78 offset:256
	v_mov_b32_e32 v178, 4
	v_and_b32_e32 v80, 0xffff, v84
	v_and_b32_e32 v84, 0xffff, v88
	v_add_nc_u32_e32 v89, -8, v62
	v_mul_u32_u24_e32 v62, 3, v62
	v_lshlrev_b32_sdwa v85, v178, v85 dst_sel:DWORD dst_unused:UNUSED_PAD src0_sel:DWORD src1_sel:BYTE_0
	v_cmp_gt_u32_e64 s0, 40, v79
	v_lshlrev_b32_e32 v179, 4, v62
	v_cndmask_b32_e64 v89, v89, v79, s0
	v_mul_i32_i24_e32 v62, 3, v89
	s_waitcnt vmcnt(14) lgkmcnt(17)
	v_mul_f64 v[82:83], v[92:93], v[38:39]
	v_mul_f64 v[38:39], v[90:91], v[38:39]
	s_waitcnt vmcnt(13) lgkmcnt(16)
	v_mul_f64 v[162:163], v[96:97], v[42:43]
	v_mul_f64 v[42:43], v[94:95], v[42:43]
	;; [unrolled: 3-line block ×4, first 2 shown]
	s_waitcnt vmcnt(10)
	v_mul_f64 v[168:169], v[104:105], v[30:31]
	v_mul_f64 v[30:31], v[102:103], v[30:31]
	s_waitcnt vmcnt(9) lgkmcnt(11)
	v_mul_f64 v[170:171], v[116:117], v[26:27]
	v_mul_f64 v[172:173], v[114:115], v[26:27]
	s_waitcnt vmcnt(8)
	v_mul_f64 v[174:175], v[112:113], v[18:19]
	v_mul_f64 v[18:19], v[110:111], v[18:19]
	s_waitcnt vmcnt(7) lgkmcnt(9)
	v_mul_f64 v[176:177], v[124:125], v[14:15]
	v_fma_f64 v[82:83], v[90:91], v[36:37], -v[82:83]
	v_fma_f64 v[36:37], v[92:93], v[36:37], v[38:39]
	v_mul_f64 v[14:15], v[122:123], v[14:15]
	s_waitcnt vmcnt(6)
	v_mul_f64 v[38:39], v[120:121], v[10:11]
	v_mul_f64 v[10:11], v[118:119], v[10:11]
	s_waitcnt vmcnt(5) lgkmcnt(6)
	v_mul_f64 v[90:91], v[136:137], v[22:23]
	v_fma_f64 v[92:93], v[94:95], v[40:41], -v[162:163]
	v_fma_f64 v[40:41], v[96:97], v[40:41], v[42:43]
	v_mul_f64 v[22:23], v[134:135], v[22:23]
	s_waitcnt vmcnt(4)
	v_mul_f64 v[42:43], v[128:129], v[6:7]
	v_mul_f64 v[6:7], v[126:127], v[6:7]
	s_waitcnt vmcnt(3) lgkmcnt(3)
	v_mul_f64 v[94:95], v[148:149], v[2:3]
	v_mul_f64 v[2:3], v[146:147], v[2:3]
	v_fma_f64 v[96:97], v[98:99], v[48:49], -v[164:165]
	v_fma_f64 v[48:49], v[100:101], v[48:49], v[50:51]
	s_waitcnt vmcnt(2)
	v_mul_f64 v[50:51], v[140:141], v[46:47]
	v_mul_f64 v[46:47], v[138:139], v[46:47]
	s_waitcnt vmcnt(1)
	v_mul_f64 v[98:99], v[144:145], v[54:55]
	v_fma_f64 v[100:101], v[106:107], v[32:33], -v[166:167]
	v_mul_f64 v[54:55], v[142:143], v[54:55]
	s_waitcnt vmcnt(0) lgkmcnt(2)
	v_mul_f64 v[106:107], v[152:153], v[58:59]
	v_mul_f64 v[58:59], v[150:151], v[58:59]
	v_fma_f64 v[34:35], v[108:109], v[32:33], v[34:35]
	v_fma_f64 v[102:103], v[102:103], v[28:29], -v[168:169]
	v_fma_f64 v[104:105], v[104:105], v[28:29], v[30:31]
	v_fma_f64 v[108:109], v[114:115], v[24:25], -v[170:171]
	;; [unrolled: 2-line block ×5, first 2 shown]
	v_fma_f64 v[8:9], v[120:121], v[8:9], v[10:11]
	ds_read_b128 v[26:29], v78 offset:512
	ds_read_b128 v[30:33], v78 offset:768
	v_fma_f64 v[10:11], v[134:135], v[20:21], -v[90:91]
	v_fma_f64 v[20:21], v[136:137], v[20:21], v[22:23]
	v_fma_f64 v[22:23], v[126:127], v[4:5], -v[42:43]
	v_fma_f64 v[4:5], v[128:129], v[4:5], v[6:7]
	;; [unrolled: 2-line block ×6, first 2 shown]
	s_waitcnt lgkmcnt(3)
	v_add_f64 v[52:53], v[154:155], -v[92:93]
	v_add_f64 v[54:55], v[156:157], -v[40:41]
	v_add_f64 v[40:41], v[82:83], -v[96:97]
	v_add_f64 v[48:49], v[36:37], -v[48:49]
	s_waitcnt lgkmcnt(2)
	v_add_f64 v[56:57], v[158:159], -v[102:103]
	v_add_f64 v[58:59], v[160:161], -v[104:105]
	v_add_f64 v[90:91], v[100:101], -v[108:109]
	v_add_f64 v[24:25], v[34:35], -v[24:25]
	;; [unrolled: 5-line block ×4, first 2 shown]
	v_mad_u32_u24 v120, 0x280, v80, 0
	v_lshlrev_b32_sdwa v0, v178, v81 dst_sel:DWORD dst_unused:UNUSED_PAD src0_sel:DWORD src1_sel:BYTE_0
	v_add_f64 v[108:109], v[130:131], -v[42:43]
	v_add_f64 v[112:113], v[132:133], -v[44:45]
	v_add_f64 v[42:43], v[2:3], -v[46:47]
	v_add_f64 v[44:45], v[38:39], -v[50:51]
	v_fma_f64 v[46:47], v[154:155], 2.0, -v[52:53]
	v_fma_f64 v[50:51], v[156:157], 2.0, -v[54:55]
	;; [unrolled: 1-line block ×8, first 2 shown]
	v_mad_u32_u24 v121, 0x280, v84, 0
	v_lshlrev_b32_sdwa v84, v178, v87 dst_sel:DWORD dst_unused:UNUSED_PAD src0_sel:DWORD src1_sel:BYTE_0
	v_fma_f64 v[87:88], v[26:27], 2.0, -v[92:93]
	v_fma_f64 v[100:101], v[28:29], 2.0, -v[94:95]
	;; [unrolled: 1-line block ×12, first 2 shown]
	v_add3_u32 v123, v181, v0, v76
	v_add_f64 v[0:1], v[52:53], -v[48:49]
	v_add_f64 v[2:3], v[54:55], v[40:41]
	v_add_f64 v[8:9], v[46:47], -v[6:7]
	v_add_f64 v[10:11], v[50:51], -v[12:13]
	;; [unrolled: 1-line block ×5, first 2 shown]
	v_add_f64 v[6:7], v[58:59], v[90:91]
	v_add_f64 v[16:17], v[92:93], -v[96:97]
	v_add_f64 v[18:19], v[94:95], v[18:19]
	v_add_f64 v[24:25], v[98:99], -v[106:107]
	v_add_f64 v[20:21], v[87:88], -v[26:27]
	;; [unrolled: 1-line block ×3, first 2 shown]
	v_add_f64 v[26:27], v[102:103], v[104:105]
	v_lshlrev_b32_sdwa v122, v178, v86 dst_sel:DWORD dst_unused:UNUSED_PAD src0_sel:DWORD src1_sel:BYTE_0
	v_add_f64 v[28:29], v[110:111], -v[30:31]
	v_add_f64 v[30:31], v[114:115], -v[32:33]
	;; [unrolled: 1-line block ×3, first 2 shown]
	v_add3_u32 v104, v182, v84, v76
	v_add_f64 v[36:37], v[116:117], -v[34:35]
	v_add_f64 v[38:39], v[118:119], -v[38:39]
	v_add_f64 v[34:35], v[112:113], v[42:43]
	v_fma_f64 v[40:41], v[52:53], 2.0, -v[0:1]
	v_fma_f64 v[42:43], v[54:55], 2.0, -v[2:3]
	;; [unrolled: 1-line block ×10, first 2 shown]
	v_add3_u32 v105, v120, v85, v76
	v_fma_f64 v[80:81], v[87:88], 2.0, -v[20:21]
	v_fma_f64 v[82:83], v[100:101], 2.0, -v[22:23]
	;; [unrolled: 1-line block ×7, first 2 shown]
	v_add3_u32 v88, v121, v122, v76
	v_fma_f64 v[98:99], v[116:117], 2.0, -v[36:37]
	v_fma_f64 v[100:101], v[118:119], 2.0, -v[38:39]
	;; [unrolled: 1-line block ×3, first 2 shown]
	s_barrier
	buffer_gl0_inv
	ds_write_b128 v180, v[0:3] offset:480
	ds_write_b128 v180, v[40:43] offset:160
	;; [unrolled: 1-line block ×3, first 2 shown]
	ds_write_b128 v180, v[48:51]
	ds_write_b128 v123, v[52:55]
	ds_write_b128 v123, v[44:47] offset:160
	ds_write_b128 v123, v[12:15] offset:320
	ds_write_b128 v123, v[4:7] offset:480
	ds_write_b128 v104, v[80:83]
	ds_write_b128 v104, v[56:59] offset:160
	ds_write_b128 v104, v[20:23] offset:320
	ds_write_b128 v104, v[16:19] offset:480
	;; [unrolled: 4-line block ×4, first 2 shown]
	s_waitcnt lgkmcnt(0)
	s_barrier
	buffer_gl0_inv
	s_clause 0x3
	global_load_dwordx4 v[24:27], v179, s[12:13] offset:480
	global_load_dwordx4 v[16:19], v179, s[12:13] offset:496
	;; [unrolled: 1-line block ×4, first 2 shown]
	v_lshlrev_b64 v[0:1], 4, v[62:63]
	v_add_nc_u32_e32 v44, 0x180, v179
	v_add_nc_u32_e32 v56, 0x480, v179
	v_lshlrev_b32_e32 v175, 4, v89
	v_add_co_u32 v32, s0, s12, v0
	v_add_co_ci_u32_e64 v33, s0, s13, v1, s0
	s_clause 0xa
	global_load_dwordx4 v[4:7], v179, s[12:13] offset:1264
	global_load_dwordx4 v[0:3], v179, s[12:13] offset:1280
	global_load_dwordx4 v[20:23], v[32:33], off offset:480
	global_load_dwordx4 v[28:31], v[32:33], off offset:496
	;; [unrolled: 1-line block ×3, first 2 shown]
	global_load_dwordx4 v[36:39], v44, s[12:13] offset:480
	global_load_dwordx4 v[40:43], v44, s[12:13] offset:496
	;; [unrolled: 1-line block ×6, first 2 shown]
	v_add_co_u32 v62, s0, s12, v69
	v_add_co_ci_u32_e64 v70, s0, s13, v70, s0
	v_cmp_lt_u32_e64 s0, 39, v79
	ds_read_b128 v[79:82], v78 offset:1280
	v_cndmask_b32_e64 v83, 0, 0xa00, s0
	v_add_co_u32 v69, s0, 0x800, v62
	v_add_co_ci_u32_e64 v70, s0, 0, v70, s0
	v_add_nc_u32_e32 v62, 0, v83
	ds_read_b128 v[83:86], v78 offset:2560
	ds_read_b128 v[87:90], v78 offset:3840
	ds_read_b128 v[91:94], v78 offset:2816
	ds_read_b128 v[95:98], v78 offset:1536
	ds_read_b128 v[99:102], v78 offset:1792
	ds_read_b128 v[103:106], v78 offset:3584
	ds_read_b128 v[107:110], v78 offset:4096
	ds_read_b128 v[111:114], v78 offset:4352
	ds_read_b128 v[115:118], v78 offset:3072
	ds_read_b128 v[119:122], v78 offset:3328
	ds_read_b128 v[123:126], v78 offset:2048
	ds_read_b128 v[127:130], v78 offset:2304
	ds_read_b128 v[131:134], v78 offset:1024
	ds_read_b128 v[135:138], v78 offset:4608
	ds_read_b128 v[139:142], v78 offset:4864
	ds_read_b128 v[143:146], v77
	ds_read_b128 v[147:150], v78 offset:256
	ds_read_b128 v[151:154], v78 offset:512
	;; [unrolled: 1-line block ×3, first 2 shown]
	v_add3_u32 v62, v62, v175, v76
	s_waitcnt vmcnt(0) lgkmcnt(0)
	s_barrier
	buffer_gl0_inv
	v_mul_f64 v[161:162], v[85:86], v[18:19]
	v_mul_f64 v[159:160], v[81:82], v[26:27]
	;; [unrolled: 1-line block ×16, first 2 shown]
	v_fma_f64 v[83:84], v[83:84], v[16:17], -v[161:162]
	v_fma_f64 v[79:80], v[79:80], v[24:25], -v[159:160]
	v_fma_f64 v[24:25], v[81:82], v[24:25], v[26:27]
	v_mul_f64 v[26:27], v[113:114], v[34:35]
	v_mul_f64 v[34:35], v[111:112], v[34:35]
	;; [unrolled: 1-line block ×4, first 2 shown]
	v_fma_f64 v[16:17], v[85:86], v[16:17], v[18:19]
	v_mul_f64 v[18:19], v[121:122], v[42:43]
	v_mul_f64 v[42:43], v[119:120], v[42:43]
	;; [unrolled: 1-line block ×4, first 2 shown]
	v_fma_f64 v[87:88], v[87:88], v[12:13], -v[163:164]
	v_fma_f64 v[12:13], v[89:90], v[12:13], v[14:15]
	v_mul_f64 v[14:15], v[129:130], v[50:51]
	v_mul_f64 v[50:51], v[127:128], v[50:51]
	;; [unrolled: 1-line block ×4, first 2 shown]
	v_fma_f64 v[95:96], v[95:96], v[8:9], -v[165:166]
	v_fma_f64 v[8:9], v[97:98], v[8:9], v[10:11]
	v_mul_f64 v[10:11], v[141:142], v[58:59]
	v_mul_f64 v[58:59], v[139:140], v[58:59]
	v_fma_f64 v[91:92], v[91:92], v[4:5], -v[167:168]
	v_fma_f64 v[4:5], v[93:94], v[4:5], v[6:7]
	v_fma_f64 v[6:7], v[107:108], v[0:1], -v[169:170]
	v_fma_f64 v[0:1], v[109:110], v[0:1], v[2:3]
	;; [unrolled: 2-line block ×11, first 2 shown]
	v_add_co_u32 v111, s0, s12, v67
	v_add_f64 v[50:51], v[143:144], -v[83:84]
	v_add_f64 v[52:53], v[145:146], -v[16:17]
	;; [unrolled: 1-line block ×8, first 2 shown]
	v_add_co_ci_u32_e64 v112, s0, s13, v68, s0
	v_add_f64 v[58:59], v[151:152], -v[22:23]
	v_add_f64 v[67:68], v[153:154], -v[28:29]
	v_add_f64 v[22:23], v[2:3], -v[26:27]
	v_add_f64 v[26:27], v[20:21], -v[30:31]
	v_add_f64 v[81:82], v[155:156], -v[18:19]
	v_add_f64 v[83:84], v[157:158], -v[36:37]
	v_add_f64 v[18:19], v[32:33], -v[38:39]
	v_add_f64 v[28:29], v[34:35], -v[40:41]
	v_add_f64 v[87:88], v[131:132], -v[44:45]
	v_add_f64 v[89:90], v[133:134], -v[46:47]
	v_add_f64 v[30:31], v[14:15], -v[10:11]
	v_add_f64 v[36:37], v[42:43], -v[48:49]
	v_fma_f64 v[85:86], v[143:144], 2.0, -v[50:51]
	v_fma_f64 v[91:92], v[145:146], 2.0, -v[52:53]
	;; [unrolled: 1-line block ×8, first 2 shown]
	v_add_f64 v[0:1], v[50:51], -v[12:13]
	v_add_f64 v[6:7], v[56:57], v[6:7]
	v_fma_f64 v[95:96], v[151:152], 2.0, -v[58:59]
	v_fma_f64 v[101:102], v[153:154], 2.0, -v[67:68]
	;; [unrolled: 1-line block ×12, first 2 shown]
	v_add_f64 v[2:3], v[52:53], v[4:5]
	v_add_f64 v[4:5], v[54:55], -v[16:17]
	v_add_f64 v[8:9], v[58:59], -v[26:27]
	v_add_f64 v[10:11], v[67:68], v[22:23]
	v_add_f64 v[20:21], v[85:86], -v[38:39]
	v_add_f64 v[22:23], v[91:92], -v[24:25]
	;; [unrolled: 1-line block ×5, first 2 shown]
	v_add_f64 v[14:15], v[83:84], v[18:19]
	v_add_f64 v[18:19], v[89:90], v[30:31]
	v_add_f64 v[16:17], v[87:88], -v[36:37]
	v_add_f64 v[28:29], v[95:96], -v[46:47]
	;; [unrolled: 1-line block ×3, first 2 shown]
	v_fma_f64 v[40:41], v[50:51], 2.0, -v[0:1]
	v_fma_f64 v[46:47], v[56:57], 2.0, -v[6:7]
	v_add_f64 v[32:33], v[103:104], -v[32:33]
	v_add_f64 v[34:35], v[105:106], -v[34:35]
	v_add_co_u32 v99, s0, 0x800, v111
	v_add_f64 v[36:37], v[107:108], -v[79:80]
	v_add_f64 v[38:39], v[109:110], -v[42:43]
	v_fma_f64 v[42:43], v[52:53], 2.0, -v[2:3]
	v_fma_f64 v[44:45], v[54:55], 2.0, -v[4:5]
	;; [unrolled: 1-line block ×10, first 2 shown]
	v_add_co_ci_u32_e64 v100, s0, 0, v112, s0
	v_fma_f64 v[83:84], v[95:96], 2.0, -v[28:29]
	v_fma_f64 v[85:86], v[101:102], 2.0, -v[30:31]
	v_add_co_u32 v111, s0, 0x1000, v111
	v_fma_f64 v[91:92], v[103:104], 2.0, -v[32:33]
	v_fma_f64 v[93:94], v[105:106], 2.0, -v[34:35]
	v_add_co_ci_u32_e64 v112, s0, 0, v112, s0
	v_add_co_u32 v71, s0, s12, v71
	v_fma_f64 v[95:96], v[107:108], 2.0, -v[36:37]
	v_fma_f64 v[97:98], v[109:110], 2.0, -v[38:39]
	;; [unrolled: 1-line block ×4, first 2 shown]
	v_add_co_ci_u32_e64 v72, s0, s13, v72, s0
	v_add_co_u32 v67, s0, s12, v73
	v_add_co_ci_u32_e64 v68, s0, s13, v74, s0
	ds_write_b128 v78, v[0:3] offset:1920
	ds_write_b128 v78, v[4:7] offset:2176
	;; [unrolled: 1-line block ×6, first 2 shown]
	ds_write_b128 v78, v[56:59]
	ds_write_b128 v78, v[79:82] offset:256
	ds_write_b128 v62, v[83:86]
	ds_write_b128 v62, v[48:51] offset:640
	ds_write_b128 v62, v[28:31] offset:1280
	;; [unrolled: 1-line block ×11, first 2 shown]
	v_add_co_u32 v32, s0, 0x800, v71
	s_waitcnt lgkmcnt(0)
	s_barrier
	buffer_gl0_inv
	s_clause 0x2
	global_load_dwordx4 v[0:3], v[69:70], off offset:352
	global_load_dwordx4 v[4:7], v[99:100], off offset:608
	;; [unrolled: 1-line block ×3, first 2 shown]
	v_add_co_ci_u32_e64 v33, s0, 0, v72, s0
	v_add_co_u32 v36, s0, 0x800, v67
	s_clause 0x3
	global_load_dwordx4 v[12:15], v[99:100], off offset:1120
	global_load_dwordx4 v[16:19], v[99:100], off offset:1376
	;; [unrolled: 1-line block ×4, first 2 shown]
	v_add_co_ci_u32_e64 v37, s0, 0, v68, s0
	s_clause 0x2
	global_load_dwordx4 v[28:31], v[111:112], off offset:96
	global_load_dwordx4 v[32:35], v[32:33], off offset:352
	;; [unrolled: 1-line block ×3, first 2 shown]
	ds_read_b128 v[40:43], v78 offset:2560
	ds_read_b128 v[44:47], v78 offset:2816
	;; [unrolled: 1-line block ×10, first 2 shown]
	ds_read_b128 v[91:94], v77
	ds_read_b128 v[95:98], v78 offset:256
	ds_read_b128 v[99:102], v78 offset:512
	;; [unrolled: 1-line block ×7, first 2 shown]
	s_waitcnt vmcnt(9) lgkmcnt(17)
	v_mul_f64 v[76:77], v[42:43], v[2:3]
	v_mul_f64 v[2:3], v[40:41], v[2:3]
	s_waitcnt vmcnt(8) lgkmcnt(16)
	v_mul_f64 v[123:124], v[46:47], v[6:7]
	v_mul_f64 v[6:7], v[44:45], v[6:7]
	;; [unrolled: 3-line block ×10, first 2 shown]
	v_fma_f64 v[40:41], v[40:41], v[0:1], -v[76:77]
	v_fma_f64 v[42:43], v[42:43], v[0:1], v[2:3]
	v_fma_f64 v[44:45], v[44:45], v[4:5], -v[123:124]
	v_fma_f64 v[46:47], v[46:47], v[4:5], v[6:7]
	;; [unrolled: 2-line block ×10, first 2 shown]
	ds_read_b128 v[0:3], v78 offset:2048
	ds_read_b128 v[4:7], v78 offset:2304
	s_waitcnt lgkmcnt(9)
	v_add_f64 v[8:9], v[91:92], -v[40:41]
	v_add_f64 v[10:11], v[93:94], -v[42:43]
	s_waitcnt lgkmcnt(8)
	v_add_f64 v[12:13], v[95:96], -v[44:45]
	v_add_f64 v[14:15], v[97:98], -v[46:47]
	;; [unrolled: 3-line block ×8, first 2 shown]
	s_waitcnt lgkmcnt(0)
	s_barrier
	v_add_f64 v[40:41], v[0:1], -v[81:82]
	v_add_f64 v[42:43], v[2:3], -v[83:84]
	;; [unrolled: 1-line block ×4, first 2 shown]
	v_fma_f64 v[48:49], v[91:92], 2.0, -v[8:9]
	v_fma_f64 v[50:51], v[93:94], 2.0, -v[10:11]
	;; [unrolled: 1-line block ×16, first 2 shown]
	buffer_gl0_inv
	v_fma_f64 v[0:1], v[0:1], 2.0, -v[40:41]
	v_fma_f64 v[2:3], v[2:3], 2.0, -v[42:43]
	v_fma_f64 v[4:5], v[4:5], 2.0, -v[44:45]
	v_fma_f64 v[6:7], v[6:7], 2.0, -v[46:47]
	ds_write_b128 v78, v[8:11] offset:2560
	ds_write_b128 v78, v[12:15] offset:2816
	;; [unrolled: 1-line block ×10, first 2 shown]
	ds_write_b128 v78, v[48:51]
	ds_write_b128 v78, v[52:55] offset:256
	ds_write_b128 v78, v[56:59] offset:512
	;; [unrolled: 1-line block ×9, first 2 shown]
	s_waitcnt lgkmcnt(0)
	s_barrier
	buffer_gl0_inv
	s_and_saveexec_b32 s0, vcc_lo
	s_cbranch_execz .LBB0_21
; %bb.20:
	v_mul_lo_u32 v2, s3, v64
	v_mul_lo_u32 v3, s2, v65
	v_mad_u64_u32 v[0:1], null, s2, v64, 0
	v_lshl_add_u32 v26, v66, 4, v75
	v_mov_b32_e32 v67, v63
	v_lshlrev_b64 v[12:13], 4, v[60:61]
	v_add_nc_u32_e32 v62, 16, v66
	v_add3_u32 v1, v1, v3, v2
	v_lshlrev_b64 v[14:15], 4, v[66:67]
	v_lshlrev_b64 v[16:17], 4, v[62:63]
	v_add_nc_u32_e32 v62, 32, v66
	v_lshlrev_b64 v[8:9], 4, v[0:1]
	ds_read_b128 v[0:3], v26
	ds_read_b128 v[4:7], v26 offset:256
	v_add_co_u32 v18, vcc_lo, s10, v8
	v_add_co_ci_u32_e32 v19, vcc_lo, s11, v9, vcc_lo
	ds_read_b128 v[8:11], v26 offset:512
	v_add_co_u32 v30, vcc_lo, v18, v12
	v_add_co_ci_u32_e32 v31, vcc_lo, v19, v13, vcc_lo
	v_lshlrev_b64 v[12:13], 4, v[62:63]
	v_add_co_u32 v14, vcc_lo, v30, v14
	v_add_co_ci_u32_e32 v15, vcc_lo, v31, v15, vcc_lo
	v_add_co_u32 v16, vcc_lo, v30, v16
	v_add_co_ci_u32_e32 v17, vcc_lo, v31, v17, vcc_lo
	v_add_co_u32 v12, vcc_lo, v30, v12
	v_add_nc_u32_e32 v62, 48, v66
	v_add_co_ci_u32_e32 v13, vcc_lo, v31, v13, vcc_lo
	s_waitcnt lgkmcnt(2)
	global_store_dwordx4 v[14:15], v[0:3], off
	s_waitcnt lgkmcnt(1)
	global_store_dwordx4 v[16:17], v[4:7], off
	ds_read_b128 v[0:3], v26 offset:768
	v_lshlrev_b64 v[18:19], 4, v[62:63]
	v_add_nc_u32_e32 v62, 64, v66
	s_waitcnt lgkmcnt(1)
	global_store_dwordx4 v[12:13], v[8:11], off
	ds_read_b128 v[4:7], v26 offset:1024
	ds_read_b128 v[8:11], v26 offset:1280
	v_lshlrev_b64 v[12:13], 4, v[62:63]
	v_add_nc_u32_e32 v62, 0x50, v66
	v_add_co_u32 v14, vcc_lo, v30, v18
	v_add_co_ci_u32_e32 v15, vcc_lo, v31, v19, vcc_lo
	v_lshlrev_b64 v[16:17], 4, v[62:63]
	v_add_co_u32 v12, vcc_lo, v30, v12
	v_add_co_ci_u32_e32 v13, vcc_lo, v31, v13, vcc_lo
	v_add_nc_u32_e32 v62, 0x60, v66
	v_add_co_u32 v16, vcc_lo, v30, v16
	v_add_co_ci_u32_e32 v17, vcc_lo, v31, v17, vcc_lo
	s_waitcnt lgkmcnt(2)
	global_store_dwordx4 v[14:15], v[0:3], off
	v_lshlrev_b64 v[14:15], 4, v[62:63]
	v_add_nc_u32_e32 v62, 0x70, v66
	s_waitcnt lgkmcnt(1)
	global_store_dwordx4 v[12:13], v[4:7], off
	s_waitcnt lgkmcnt(0)
	global_store_dwordx4 v[16:17], v[8:11], off
	ds_read_b128 v[0:3], v26 offset:1536
	ds_read_b128 v[4:7], v26 offset:1792
	;; [unrolled: 1-line block ×3, first 2 shown]
	v_lshlrev_b64 v[12:13], 4, v[62:63]
	v_add_nc_u32_e32 v62, 0x80, v66
	v_add_co_u32 v14, vcc_lo, v30, v14
	v_add_co_ci_u32_e32 v15, vcc_lo, v31, v15, vcc_lo
	v_lshlrev_b64 v[16:17], 4, v[62:63]
	v_add_co_u32 v12, vcc_lo, v30, v12
	v_add_co_ci_u32_e32 v13, vcc_lo, v31, v13, vcc_lo
	v_add_nc_u32_e32 v62, 0x90, v66
	v_add_co_u32 v16, vcc_lo, v30, v16
	v_add_co_ci_u32_e32 v17, vcc_lo, v31, v17, vcc_lo
	v_lshlrev_b64 v[18:19], 4, v[62:63]
	v_add_nc_u32_e32 v62, 0xa0, v66
	s_waitcnt lgkmcnt(2)
	global_store_dwordx4 v[14:15], v[0:3], off
	s_waitcnt lgkmcnt(1)
	global_store_dwordx4 v[12:13], v[4:7], off
	;; [unrolled: 2-line block ×3, first 2 shown]
	ds_read_b128 v[0:3], v26 offset:2304
	ds_read_b128 v[4:7], v26 offset:2560
	;; [unrolled: 1-line block ×3, first 2 shown]
	v_lshlrev_b64 v[12:13], 4, v[62:63]
	v_add_nc_u32_e32 v62, 0xb0, v66
	v_add_co_u32 v14, vcc_lo, v30, v18
	v_add_co_ci_u32_e32 v15, vcc_lo, v31, v19, vcc_lo
	v_lshlrev_b64 v[16:17], 4, v[62:63]
	v_add_co_u32 v12, vcc_lo, v30, v12
	v_add_co_ci_u32_e32 v13, vcc_lo, v31, v13, vcc_lo
	v_add_nc_u32_e32 v62, 0xc0, v66
	v_add_co_u32 v16, vcc_lo, v30, v16
	v_add_co_ci_u32_e32 v17, vcc_lo, v31, v17, vcc_lo
	s_waitcnt lgkmcnt(2)
	global_store_dwordx4 v[14:15], v[0:3], off
	s_waitcnt lgkmcnt(1)
	global_store_dwordx4 v[12:13], v[4:7], off
	;; [unrolled: 2-line block ×3, first 2 shown]
	v_lshlrev_b64 v[14:15], 4, v[62:63]
	v_add_nc_u32_e32 v62, 0xd0, v66
	ds_read_b128 v[0:3], v26 offset:3072
	ds_read_b128 v[4:7], v26 offset:3328
	;; [unrolled: 1-line block ×3, first 2 shown]
	v_lshlrev_b64 v[12:13], 4, v[62:63]
	v_add_nc_u32_e32 v62, 0xe0, v66
	v_add_co_u32 v14, vcc_lo, v30, v14
	v_add_co_ci_u32_e32 v15, vcc_lo, v31, v15, vcc_lo
	v_lshlrev_b64 v[16:17], 4, v[62:63]
	v_add_nc_u32_e32 v62, 0xf0, v66
	v_add_co_u32 v12, vcc_lo, v30, v12
	v_add_co_ci_u32_e32 v13, vcc_lo, v31, v13, vcc_lo
	v_lshlrev_b64 v[18:19], 4, v[62:63]
	v_add_nc_u32_e32 v62, 0x100, v66
	v_add_co_u32 v16, vcc_lo, v30, v16
	s_waitcnt lgkmcnt(2)
	global_store_dwordx4 v[14:15], v[0:3], off
	s_waitcnt lgkmcnt(1)
	global_store_dwordx4 v[12:13], v[4:7], off
	v_add_co_ci_u32_e32 v17, vcc_lo, v31, v17, vcc_lo
	v_lshlrev_b64 v[4:5], 4, v[62:63]
	v_add_co_u32 v20, vcc_lo, v30, v18
	v_add_nc_u32_e32 v62, 0x110, v66
	v_add_co_ci_u32_e32 v21, vcc_lo, v31, v19, vcc_lo
	v_add_co_u32 v22, vcc_lo, v30, v4
	s_waitcnt lgkmcnt(0)
	global_store_dwordx4 v[16:17], v[8:11], off
	ds_read_b128 v[0:3], v26 offset:3840
	v_add_co_ci_u32_e32 v23, vcc_lo, v31, v5, vcc_lo
	ds_read_b128 v[4:7], v26 offset:4096
	ds_read_b128 v[8:11], v26 offset:4352
	;; [unrolled: 1-line block ×4, first 2 shown]
	v_lshlrev_b64 v[24:25], 4, v[62:63]
	v_add_nc_u32_e32 v62, 0x120, v66
	v_lshlrev_b64 v[26:27], 4, v[62:63]
	v_add_nc_u32_e32 v62, 0x130, v66
	v_add_co_u32 v24, vcc_lo, v30, v24
	v_add_co_ci_u32_e32 v25, vcc_lo, v31, v25, vcc_lo
	v_lshlrev_b64 v[28:29], 4, v[62:63]
	v_add_co_u32 v26, vcc_lo, v30, v26
	v_add_co_ci_u32_e32 v27, vcc_lo, v31, v27, vcc_lo
	v_add_co_u32 v28, vcc_lo, v30, v28
	v_add_co_ci_u32_e32 v29, vcc_lo, v31, v29, vcc_lo
	s_waitcnt lgkmcnt(4)
	global_store_dwordx4 v[20:21], v[0:3], off
	s_waitcnt lgkmcnt(3)
	global_store_dwordx4 v[22:23], v[4:7], off
	;; [unrolled: 2-line block ×5, first 2 shown]
.LBB0_21:
	s_endpgm
	.section	.rodata,"a",@progbits
	.p2align	6, 0x0
	.amdhsa_kernel fft_rtc_fwd_len320_factors_10_4_4_2_wgs_64_tpt_16_halfLds_dp_op_CI_CI_unitstride_sbrr_C2R_dirReg
		.amdhsa_group_segment_fixed_size 0
		.amdhsa_private_segment_fixed_size 0
		.amdhsa_kernarg_size 104
		.amdhsa_user_sgpr_count 6
		.amdhsa_user_sgpr_private_segment_buffer 1
		.amdhsa_user_sgpr_dispatch_ptr 0
		.amdhsa_user_sgpr_queue_ptr 0
		.amdhsa_user_sgpr_kernarg_segment_ptr 1
		.amdhsa_user_sgpr_dispatch_id 0
		.amdhsa_user_sgpr_flat_scratch_init 0
		.amdhsa_user_sgpr_private_segment_size 0
		.amdhsa_wavefront_size32 1
		.amdhsa_uses_dynamic_stack 0
		.amdhsa_system_sgpr_private_segment_wavefront_offset 0
		.amdhsa_system_sgpr_workgroup_id_x 1
		.amdhsa_system_sgpr_workgroup_id_y 0
		.amdhsa_system_sgpr_workgroup_id_z 0
		.amdhsa_system_sgpr_workgroup_info 0
		.amdhsa_system_vgpr_workitem_id 0
		.amdhsa_next_free_vgpr 197
		.amdhsa_next_free_sgpr 27
		.amdhsa_reserve_vcc 1
		.amdhsa_reserve_flat_scratch 0
		.amdhsa_float_round_mode_32 0
		.amdhsa_float_round_mode_16_64 0
		.amdhsa_float_denorm_mode_32 3
		.amdhsa_float_denorm_mode_16_64 3
		.amdhsa_dx10_clamp 1
		.amdhsa_ieee_mode 1
		.amdhsa_fp16_overflow 0
		.amdhsa_workgroup_processor_mode 1
		.amdhsa_memory_ordered 1
		.amdhsa_forward_progress 0
		.amdhsa_shared_vgpr_count 0
		.amdhsa_exception_fp_ieee_invalid_op 0
		.amdhsa_exception_fp_denorm_src 0
		.amdhsa_exception_fp_ieee_div_zero 0
		.amdhsa_exception_fp_ieee_overflow 0
		.amdhsa_exception_fp_ieee_underflow 0
		.amdhsa_exception_fp_ieee_inexact 0
		.amdhsa_exception_int_div_zero 0
	.end_amdhsa_kernel
	.text
.Lfunc_end0:
	.size	fft_rtc_fwd_len320_factors_10_4_4_2_wgs_64_tpt_16_halfLds_dp_op_CI_CI_unitstride_sbrr_C2R_dirReg, .Lfunc_end0-fft_rtc_fwd_len320_factors_10_4_4_2_wgs_64_tpt_16_halfLds_dp_op_CI_CI_unitstride_sbrr_C2R_dirReg
                                        ; -- End function
	.section	.AMDGPU.csdata,"",@progbits
; Kernel info:
; codeLenInByte = 12916
; NumSgprs: 29
; NumVgprs: 197
; ScratchSize: 0
; MemoryBound: 0
; FloatMode: 240
; IeeeMode: 1
; LDSByteSize: 0 bytes/workgroup (compile time only)
; SGPRBlocks: 3
; VGPRBlocks: 24
; NumSGPRsForWavesPerEU: 29
; NumVGPRsForWavesPerEU: 197
; Occupancy: 4
; WaveLimiterHint : 1
; COMPUTE_PGM_RSRC2:SCRATCH_EN: 0
; COMPUTE_PGM_RSRC2:USER_SGPR: 6
; COMPUTE_PGM_RSRC2:TRAP_HANDLER: 0
; COMPUTE_PGM_RSRC2:TGID_X_EN: 1
; COMPUTE_PGM_RSRC2:TGID_Y_EN: 0
; COMPUTE_PGM_RSRC2:TGID_Z_EN: 0
; COMPUTE_PGM_RSRC2:TIDIG_COMP_CNT: 0
	.text
	.p2alignl 6, 3214868480
	.fill 48, 4, 3214868480
	.type	__hip_cuid_4ecd6ba80f872159,@object ; @__hip_cuid_4ecd6ba80f872159
	.section	.bss,"aw",@nobits
	.globl	__hip_cuid_4ecd6ba80f872159
__hip_cuid_4ecd6ba80f872159:
	.byte	0                               ; 0x0
	.size	__hip_cuid_4ecd6ba80f872159, 1

	.ident	"AMD clang version 19.0.0git (https://github.com/RadeonOpenCompute/llvm-project roc-6.4.0 25133 c7fe45cf4b819c5991fe208aaa96edf142730f1d)"
	.section	".note.GNU-stack","",@progbits
	.addrsig
	.addrsig_sym __hip_cuid_4ecd6ba80f872159
	.amdgpu_metadata
---
amdhsa.kernels:
  - .args:
      - .actual_access:  read_only
        .address_space:  global
        .offset:         0
        .size:           8
        .value_kind:     global_buffer
      - .offset:         8
        .size:           8
        .value_kind:     by_value
      - .actual_access:  read_only
        .address_space:  global
        .offset:         16
        .size:           8
        .value_kind:     global_buffer
      - .actual_access:  read_only
        .address_space:  global
        .offset:         24
        .size:           8
        .value_kind:     global_buffer
      - .actual_access:  read_only
        .address_space:  global
        .offset:         32
        .size:           8
        .value_kind:     global_buffer
      - .offset:         40
        .size:           8
        .value_kind:     by_value
      - .actual_access:  read_only
        .address_space:  global
        .offset:         48
        .size:           8
        .value_kind:     global_buffer
      - .actual_access:  read_only
        .address_space:  global
        .offset:         56
        .size:           8
        .value_kind:     global_buffer
      - .offset:         64
        .size:           4
        .value_kind:     by_value
      - .actual_access:  read_only
        .address_space:  global
        .offset:         72
        .size:           8
        .value_kind:     global_buffer
      - .actual_access:  read_only
        .address_space:  global
        .offset:         80
        .size:           8
        .value_kind:     global_buffer
      - .actual_access:  read_only
        .address_space:  global
        .offset:         88
        .size:           8
        .value_kind:     global_buffer
      - .actual_access:  write_only
        .address_space:  global
        .offset:         96
        .size:           8
        .value_kind:     global_buffer
    .group_segment_fixed_size: 0
    .kernarg_segment_align: 8
    .kernarg_segment_size: 104
    .language:       OpenCL C
    .language_version:
      - 2
      - 0
    .max_flat_workgroup_size: 64
    .name:           fft_rtc_fwd_len320_factors_10_4_4_2_wgs_64_tpt_16_halfLds_dp_op_CI_CI_unitstride_sbrr_C2R_dirReg
    .private_segment_fixed_size: 0
    .sgpr_count:     29
    .sgpr_spill_count: 0
    .symbol:         fft_rtc_fwd_len320_factors_10_4_4_2_wgs_64_tpt_16_halfLds_dp_op_CI_CI_unitstride_sbrr_C2R_dirReg.kd
    .uniform_work_group_size: 1
    .uses_dynamic_stack: false
    .vgpr_count:     197
    .vgpr_spill_count: 0
    .wavefront_size: 32
    .workgroup_processor_mode: 1
amdhsa.target:   amdgcn-amd-amdhsa--gfx1030
amdhsa.version:
  - 1
  - 2
...

	.end_amdgpu_metadata
